;; amdgpu-corpus repo=ROCm/rocFFT kind=compiled arch=gfx1030 opt=O3
	.text
	.amdgcn_target "amdgcn-amd-amdhsa--gfx1030"
	.amdhsa_code_object_version 6
	.protected	fft_rtc_fwd_len1056_factors_2_2_2_2_11_6_wgs_176_tpt_176_halfLds_half_op_CI_CI_unitstride_sbrr_dirReg ; -- Begin function fft_rtc_fwd_len1056_factors_2_2_2_2_11_6_wgs_176_tpt_176_halfLds_half_op_CI_CI_unitstride_sbrr_dirReg
	.globl	fft_rtc_fwd_len1056_factors_2_2_2_2_11_6_wgs_176_tpt_176_halfLds_half_op_CI_CI_unitstride_sbrr_dirReg
	.p2align	8
	.type	fft_rtc_fwd_len1056_factors_2_2_2_2_11_6_wgs_176_tpt_176_halfLds_half_op_CI_CI_unitstride_sbrr_dirReg,@function
fft_rtc_fwd_len1056_factors_2_2_2_2_11_6_wgs_176_tpt_176_halfLds_half_op_CI_CI_unitstride_sbrr_dirReg: ; @fft_rtc_fwd_len1056_factors_2_2_2_2_11_6_wgs_176_tpt_176_halfLds_half_op_CI_CI_unitstride_sbrr_dirReg
; %bb.0:
	s_clause 0x2
	s_load_dwordx4 s[12:15], s[4:5], 0x0
	s_load_dwordx4 s[8:11], s[4:5], 0x58
	;; [unrolled: 1-line block ×3, first 2 shown]
	v_mul_u32_u24_e32 v1, 0x175, v0
	v_mov_b32_e32 v5, 0
	v_mov_b32_e32 v8, 0
	;; [unrolled: 1-line block ×3, first 2 shown]
	v_add_nc_u32_sdwa v10, s6, v1 dst_sel:DWORD dst_unused:UNUSED_PAD src0_sel:DWORD src1_sel:WORD_1
	v_mov_b32_e32 v11, v5
	s_waitcnt lgkmcnt(0)
	v_cmp_lt_u64_e64 s0, s[14:15], 2
	s_and_b32 vcc_lo, exec_lo, s0
	s_cbranch_vccnz .LBB0_8
; %bb.1:
	s_load_dwordx2 s[0:1], s[4:5], 0x10
	v_mov_b32_e32 v8, 0
	v_mov_b32_e32 v9, 0
	s_add_u32 s2, s18, 8
	s_addc_u32 s3, s19, 0
	v_mov_b32_e32 v1, v8
	s_add_u32 s6, s16, 8
	v_mov_b32_e32 v2, v9
	s_addc_u32 s7, s17, 0
	s_mov_b64 s[22:23], 1
	s_waitcnt lgkmcnt(0)
	s_add_u32 s20, s0, 8
	s_addc_u32 s21, s1, 0
.LBB0_2:                                ; =>This Inner Loop Header: Depth=1
	s_load_dwordx2 s[24:25], s[20:21], 0x0
                                        ; implicit-def: $vgpr3_vgpr4
	s_mov_b32 s0, exec_lo
	s_waitcnt lgkmcnt(0)
	v_or_b32_e32 v6, s25, v11
	v_cmpx_ne_u64_e32 0, v[5:6]
	s_xor_b32 s1, exec_lo, s0
	s_cbranch_execz .LBB0_4
; %bb.3:                                ;   in Loop: Header=BB0_2 Depth=1
	v_cvt_f32_u32_e32 v3, s24
	v_cvt_f32_u32_e32 v4, s25
	s_sub_u32 s0, 0, s24
	s_subb_u32 s26, 0, s25
	v_fmac_f32_e32 v3, 0x4f800000, v4
	v_rcp_f32_e32 v3, v3
	v_mul_f32_e32 v3, 0x5f7ffffc, v3
	v_mul_f32_e32 v4, 0x2f800000, v3
	v_trunc_f32_e32 v4, v4
	v_fmac_f32_e32 v3, 0xcf800000, v4
	v_cvt_u32_f32_e32 v4, v4
	v_cvt_u32_f32_e32 v3, v3
	v_mul_lo_u32 v6, s0, v4
	v_mul_hi_u32 v7, s0, v3
	v_mul_lo_u32 v12, s26, v3
	v_add_nc_u32_e32 v6, v7, v6
	v_mul_lo_u32 v7, s0, v3
	v_add_nc_u32_e32 v6, v6, v12
	v_mul_hi_u32 v12, v3, v7
	v_mul_lo_u32 v13, v3, v6
	v_mul_hi_u32 v14, v3, v6
	v_mul_hi_u32 v15, v4, v7
	v_mul_lo_u32 v7, v4, v7
	v_mul_hi_u32 v16, v4, v6
	v_mul_lo_u32 v6, v4, v6
	v_add_co_u32 v12, vcc_lo, v12, v13
	v_add_co_ci_u32_e32 v13, vcc_lo, 0, v14, vcc_lo
	v_add_co_u32 v7, vcc_lo, v12, v7
	v_add_co_ci_u32_e32 v7, vcc_lo, v13, v15, vcc_lo
	v_add_co_ci_u32_e32 v12, vcc_lo, 0, v16, vcc_lo
	v_add_co_u32 v6, vcc_lo, v7, v6
	v_add_co_ci_u32_e32 v7, vcc_lo, 0, v12, vcc_lo
	v_add_co_u32 v3, vcc_lo, v3, v6
	v_add_co_ci_u32_e32 v4, vcc_lo, v4, v7, vcc_lo
	v_mul_hi_u32 v6, s0, v3
	v_mul_lo_u32 v12, s26, v3
	v_mul_lo_u32 v7, s0, v4
	v_add_nc_u32_e32 v6, v6, v7
	v_mul_lo_u32 v7, s0, v3
	v_add_nc_u32_e32 v6, v6, v12
	v_mul_hi_u32 v12, v3, v7
	v_mul_lo_u32 v13, v3, v6
	v_mul_hi_u32 v14, v3, v6
	v_mul_hi_u32 v15, v4, v7
	v_mul_lo_u32 v7, v4, v7
	v_mul_hi_u32 v16, v4, v6
	v_mul_lo_u32 v6, v4, v6
	v_add_co_u32 v12, vcc_lo, v12, v13
	v_add_co_ci_u32_e32 v13, vcc_lo, 0, v14, vcc_lo
	v_add_co_u32 v7, vcc_lo, v12, v7
	v_add_co_ci_u32_e32 v7, vcc_lo, v13, v15, vcc_lo
	v_add_co_ci_u32_e32 v12, vcc_lo, 0, v16, vcc_lo
	v_add_co_u32 v6, vcc_lo, v7, v6
	v_add_co_ci_u32_e32 v7, vcc_lo, 0, v12, vcc_lo
	v_add_co_u32 v6, vcc_lo, v3, v6
	v_add_co_ci_u32_e32 v12, vcc_lo, v4, v7, vcc_lo
	v_mul_hi_u32 v14, v10, v6
	v_mad_u64_u32 v[6:7], null, v11, v6, 0
	v_mad_u64_u32 v[3:4], null, v10, v12, 0
	;; [unrolled: 1-line block ×3, first 2 shown]
	v_add_co_u32 v3, vcc_lo, v14, v3
	v_add_co_ci_u32_e32 v4, vcc_lo, 0, v4, vcc_lo
	v_add_co_u32 v3, vcc_lo, v3, v6
	v_add_co_ci_u32_e32 v3, vcc_lo, v4, v7, vcc_lo
	v_add_co_ci_u32_e32 v4, vcc_lo, 0, v13, vcc_lo
	v_add_co_u32 v6, vcc_lo, v3, v12
	v_add_co_ci_u32_e32 v7, vcc_lo, 0, v4, vcc_lo
	v_mul_lo_u32 v12, s25, v6
	v_mad_u64_u32 v[3:4], null, s24, v6, 0
	v_mul_lo_u32 v13, s24, v7
	v_sub_co_u32 v3, vcc_lo, v10, v3
	v_add3_u32 v4, v4, v13, v12
	v_sub_nc_u32_e32 v12, v11, v4
	v_subrev_co_ci_u32_e64 v12, s0, s25, v12, vcc_lo
	v_add_co_u32 v13, s0, v6, 2
	v_add_co_ci_u32_e64 v14, s0, 0, v7, s0
	v_sub_co_u32 v15, s0, v3, s24
	v_sub_co_ci_u32_e32 v4, vcc_lo, v11, v4, vcc_lo
	v_subrev_co_ci_u32_e64 v12, s0, 0, v12, s0
	v_cmp_le_u32_e32 vcc_lo, s24, v15
	v_cmp_eq_u32_e64 s0, s25, v4
	v_cndmask_b32_e64 v15, 0, -1, vcc_lo
	v_cmp_le_u32_e32 vcc_lo, s25, v12
	v_cndmask_b32_e64 v16, 0, -1, vcc_lo
	v_cmp_le_u32_e32 vcc_lo, s24, v3
	;; [unrolled: 2-line block ×3, first 2 shown]
	v_cndmask_b32_e64 v17, 0, -1, vcc_lo
	v_cmp_eq_u32_e32 vcc_lo, s25, v12
	v_cndmask_b32_e64 v3, v17, v3, s0
	v_cndmask_b32_e32 v12, v16, v15, vcc_lo
	v_add_co_u32 v15, vcc_lo, v6, 1
	v_add_co_ci_u32_e32 v16, vcc_lo, 0, v7, vcc_lo
	v_cmp_ne_u32_e32 vcc_lo, 0, v12
	v_cndmask_b32_e32 v4, v16, v14, vcc_lo
	v_cndmask_b32_e32 v12, v15, v13, vcc_lo
	v_cmp_ne_u32_e32 vcc_lo, 0, v3
	v_cndmask_b32_e32 v4, v7, v4, vcc_lo
	v_cndmask_b32_e32 v3, v6, v12, vcc_lo
.LBB0_4:                                ;   in Loop: Header=BB0_2 Depth=1
	s_andn2_saveexec_b32 s0, s1
	s_cbranch_execz .LBB0_6
; %bb.5:                                ;   in Loop: Header=BB0_2 Depth=1
	v_cvt_f32_u32_e32 v3, s24
	s_sub_i32 s1, 0, s24
	v_rcp_iflag_f32_e32 v3, v3
	v_mul_f32_e32 v3, 0x4f7ffffe, v3
	v_cvt_u32_f32_e32 v3, v3
	v_mul_lo_u32 v4, s1, v3
	v_mul_hi_u32 v4, v3, v4
	v_add_nc_u32_e32 v3, v3, v4
	v_mul_hi_u32 v3, v10, v3
	v_mul_lo_u32 v4, v3, s24
	v_add_nc_u32_e32 v6, 1, v3
	v_sub_nc_u32_e32 v4, v10, v4
	v_subrev_nc_u32_e32 v7, s24, v4
	v_cmp_le_u32_e32 vcc_lo, s24, v4
	v_cndmask_b32_e32 v4, v4, v7, vcc_lo
	v_cndmask_b32_e32 v3, v3, v6, vcc_lo
	v_cmp_le_u32_e32 vcc_lo, s24, v4
	v_add_nc_u32_e32 v6, 1, v3
	v_mov_b32_e32 v4, v5
	v_cndmask_b32_e32 v3, v3, v6, vcc_lo
.LBB0_6:                                ;   in Loop: Header=BB0_2 Depth=1
	s_or_b32 exec_lo, exec_lo, s0
	v_mul_lo_u32 v12, v4, s24
	v_mul_lo_u32 v13, v3, s25
	s_load_dwordx2 s[0:1], s[6:7], 0x0
	v_mad_u64_u32 v[6:7], null, v3, s24, 0
	s_load_dwordx2 s[24:25], s[2:3], 0x0
	s_add_u32 s22, s22, 1
	s_addc_u32 s23, s23, 0
	s_add_u32 s2, s2, 8
	s_addc_u32 s3, s3, 0
	s_add_u32 s6, s6, 8
	v_add3_u32 v7, v7, v13, v12
	v_sub_co_u32 v6, vcc_lo, v10, v6
	s_addc_u32 s7, s7, 0
	s_add_u32 s20, s20, 8
	v_sub_co_ci_u32_e32 v7, vcc_lo, v11, v7, vcc_lo
	s_addc_u32 s21, s21, 0
	s_waitcnt lgkmcnt(0)
	v_mul_lo_u32 v10, s0, v7
	v_mul_lo_u32 v11, s1, v6
	v_mad_u64_u32 v[8:9], null, s0, v6, v[8:9]
	v_mul_lo_u32 v7, s24, v7
	v_mul_lo_u32 v12, s25, v6
	v_mad_u64_u32 v[1:2], null, s24, v6, v[1:2]
	v_cmp_ge_u64_e64 s0, s[22:23], s[14:15]
	v_add3_u32 v9, v11, v9, v10
	v_add3_u32 v2, v12, v2, v7
	s_and_b32 vcc_lo, exec_lo, s0
	s_cbranch_vccnz .LBB0_9
; %bb.7:                                ;   in Loop: Header=BB0_2 Depth=1
	v_mov_b32_e32 v11, v4
	v_mov_b32_e32 v10, v3
	s_branch .LBB0_2
.LBB0_8:
	v_mov_b32_e32 v1, v8
	v_mov_b32_e32 v3, v10
	;; [unrolled: 1-line block ×4, first 2 shown]
.LBB0_9:
	s_load_dwordx2 s[0:1], s[4:5], 0x28
	v_mul_hi_u32 v11, 0x1745d18, v0
	s_lshl_b64 s[4:5], s[14:15], 3
                                        ; implicit-def: $sgpr14
                                        ; implicit-def: $sgpr6_sgpr7
                                        ; implicit-def: $vgpr7
	s_add_u32 s2, s18, s4
	s_addc_u32 s3, s19, s5
	s_waitcnt lgkmcnt(0)
	v_cmp_gt_u64_e32 vcc_lo, s[0:1], v[3:4]
	v_cmp_le_u64_e64 s0, s[0:1], v[3:4]
	s_and_saveexec_b32 s1, s0
	s_xor_b32 s0, exec_lo, s1
; %bb.10:
	v_mul_u32_u24_e32 v5, 0xb0, v11
	s_mov_b64 s[6:7], 0
	s_mov_b32 s14, 0
                                        ; implicit-def: $vgpr11
                                        ; implicit-def: $vgpr8_vgpr9
	v_sub_nc_u32_e32 v7, v0, v5
                                        ; implicit-def: $vgpr0
; %bb.11:
	s_or_saveexec_b32 s1, s0
	v_mov_b32_e32 v5, s6
	v_mov_b32_e32 v10, s14
	;; [unrolled: 1-line block ×5, first 2 shown]
                                        ; implicit-def: $vgpr19
                                        ; implicit-def: $vgpr14
                                        ; implicit-def: $vgpr18
                                        ; implicit-def: $vgpr15
                                        ; implicit-def: $vgpr17
                                        ; implicit-def: $vgpr16
	s_xor_b32 exec_lo, exec_lo, s1
	s_cbranch_execz .LBB0_13
; %bb.12:
	s_add_u32 s4, s16, s4
	s_addc_u32 s5, s17, s5
	v_lshlrev_b64 v[8:9], 2, v[8:9]
	s_load_dwordx2 s[4:5], s[4:5], 0x0
	s_waitcnt lgkmcnt(0)
	v_mul_lo_u32 v7, s5, v3
	v_mul_lo_u32 v10, s4, v4
	v_mad_u64_u32 v[5:6], null, s4, v3, 0
	v_add3_u32 v6, v6, v10, v7
	v_mul_u32_u24_e32 v7, 0xb0, v11
	v_lshlrev_b64 v[5:6], 2, v[5:6]
	v_sub_nc_u32_e32 v7, v0, v7
	v_add_co_u32 v0, s0, s8, v5
	v_add_co_ci_u32_e64 v5, s0, s9, v6, s0
	v_lshlrev_b32_e32 v6, 2, v7
	v_add_co_u32 v0, s0, v0, v8
	v_add_co_ci_u32_e64 v8, s0, v5, v9, s0
	v_add_co_u32 v5, s0, v0, v6
	v_add_co_ci_u32_e64 v6, s0, 0, v8, s0
	v_add_co_u32 v8, s0, 0x800, v5
	v_add_co_ci_u32_e64 v9, s0, 0, v6, s0
	s_clause 0x5
	global_load_dword v14, v[8:9], off offset:64
	global_load_dword v15, v[8:9], off offset:768
	;; [unrolled: 1-line block ×3, first 2 shown]
	global_load_dword v10, v[5:6], off
	global_load_dword v13, v[5:6], off offset:704
	global_load_dword v12, v[5:6], off offset:1408
	v_mov_b32_e32 v8, 0
	v_mov_b32_e32 v5, v7
	;; [unrolled: 1-line block ×3, first 2 shown]
	s_waitcnt vmcnt(5)
	v_lshrrev_b32_e32 v19, 16, v14
	s_waitcnt vmcnt(4)
	v_lshrrev_b32_e32 v18, 16, v15
	;; [unrolled: 2-line block ×3, first 2 shown]
.LBB0_13:
	s_or_b32 exec_lo, exec_lo, s1
	s_waitcnt vmcnt(2)
	v_lshrrev_b32_e32 v0, 16, v10
	v_sub_f16_e32 v9, v10, v14
	s_waitcnt vmcnt(1)
	v_lshrrev_b32_e32 v8, 16, v13
	v_sub_f16_e32 v11, v13, v15
	;; [unrolled: 3-line block ×3, first 2 shown]
	v_sub_f16_e32 v16, v12, v16
	v_fma_f16 v10, v10, 2.0, -v9
	v_sub_f16_e32 v18, v8, v18
	v_fma_f16 v13, v13, 2.0, -v11
	v_add_nc_u32_e32 v19, 0xb0, v7
	v_fma_f16 v0, v0, 2.0, -v14
	v_sub_f16_e32 v17, v15, v17
	v_fma_f16 v12, v12, 2.0, -v16
	v_lshlrev_b32_e32 v21, 1, v7
	v_add_nc_u32_e32 v20, 0x160, v7
	v_lshl_add_u32 v23, v7, 2, 0
	v_pack_b32_f16 v9, v10, v9
	v_fma_f16 v8, v8, 2.0, -v18
	v_lshl_add_u32 v10, v19, 2, 0
	v_pack_b32_f16 v11, v13, v11
	s_load_dwordx2 s[2:3], s[2:3], 0x0
	v_lshl_add_u32 v13, v20, 2, 0
	v_pack_b32_f16 v12, v12, v16
	v_fma_f16 v15, v15, 2.0, -v17
	ds_write_b32 v23, v9
	ds_write_b32 v10, v11
	v_sub_nc_u32_e32 v11, v23, v21
	v_pack_b32_f16 v0, v0, v14
	v_and_b32_e32 v14, 1, v7
	v_pack_b32_f16 v8, v8, v18
	ds_write_b32 v13, v12
	s_waitcnt lgkmcnt(0)
	s_barrier
	buffer_gl0_inv
	ds_read_u16 v9, v11
	ds_read_u16 v12, v11 offset:352
	ds_read_u16 v16, v11 offset:1408
	;; [unrolled: 1-line block ×5, first 2 shown]
	s_waitcnt lgkmcnt(0)
	s_barrier
	v_pack_b32_f16 v15, v15, v17
	buffer_gl0_inv
	ds_write_b32 v23, v0
	ds_write_b32 v10, v8
	v_lshlrev_b32_e32 v0, 2, v14
	v_lshlrev_b32_e32 v17, 1, v20
	ds_write_b32 v13, v15
	s_waitcnt lgkmcnt(0)
	s_barrier
	buffer_gl0_inv
	global_load_dword v0, v0, s[12:13]
	ds_read_u16 v8, v11 offset:1056
	ds_read_u16 v10, v11 offset:1408
	;; [unrolled: 1-line block ×3, first 2 shown]
	ds_read_u16 v27, v11
	ds_read_u16 v28, v11 offset:352
	ds_read_u16 v29, v11 offset:704
	v_lshlrev_b32_e32 v13, 1, v19
	v_and_b32_e32 v18, 3, v7
	v_and_or_b32 v19, 0x1fc, v21, v14
	s_waitcnt vmcnt(0) lgkmcnt(0)
	s_barrier
	v_and_or_b32 v20, 0x3fc, v13, v14
	v_and_or_b32 v14, 0x7fc, v17, v14
	v_lshlrev_b32_e32 v26, 2, v18
	v_lshl_add_u32 v19, v19, 1, 0
	buffer_gl0_inv
	v_lshl_add_u32 v20, v20, 1, 0
	v_lshl_add_u32 v14, v14, 1, 0
	v_cmp_gt_u32_e64 s0, 0x60, v7
	v_mul_f16_sdwa v31, v24, v0 dst_sel:DWORD dst_unused:UNUSED_PAD src0_sel:DWORD src1_sel:WORD_1
	v_mul_f16_sdwa v30, v8, v0 dst_sel:DWORD dst_unused:UNUSED_PAD src0_sel:DWORD src1_sel:WORD_1
	v_mul_f16_sdwa v32, v10, v0 dst_sel:DWORD dst_unused:UNUSED_PAD src0_sel:DWORD src1_sel:WORD_1
	v_mul_f16_sdwa v33, v16, v0 dst_sel:DWORD dst_unused:UNUSED_PAD src0_sel:DWORD src1_sel:WORD_1
	v_mul_f16_sdwa v34, v15, v0 dst_sel:DWORD dst_unused:UNUSED_PAD src0_sel:DWORD src1_sel:WORD_1
	v_mul_f16_sdwa v35, v22, v0 dst_sel:DWORD dst_unused:UNUSED_PAD src0_sel:DWORD src1_sel:WORD_1
	v_fmac_f16_e32 v31, v8, v0
	v_fma_f16 v24, v24, v0, -v30
	v_fma_f16 v8, v16, v0, -v32
	v_fmac_f16_e32 v33, v10, v0
	v_fma_f16 v10, v22, v0, -v34
	v_fmac_f16_e32 v35, v15, v0
	v_sub_f16_e32 v15, v27, v31
	v_sub_f16_e32 v0, v9, v24
	;; [unrolled: 1-line block ×6, first 2 shown]
	v_fma_f16 v24, v27, 2.0, -v15
	v_fma_f16 v9, v9, 2.0, -v0
	;; [unrolled: 1-line block ×6, first 2 shown]
	ds_write_b16 v19, v0 offset:4
	ds_write_b16 v19, v9
	ds_write_b16 v20, v12
	ds_write_b16 v20, v8 offset:4
	ds_write_b16 v14, v25
	ds_write_b16 v14, v10 offset:4
	s_waitcnt lgkmcnt(0)
	s_barrier
	buffer_gl0_inv
	ds_read_u16 v0, v11
	ds_read_u16 v8, v11 offset:352
	ds_read_u16 v9, v11 offset:1408
	;; [unrolled: 1-line block ×5, first 2 shown]
	s_waitcnt lgkmcnt(0)
	s_barrier
	buffer_gl0_inv
	ds_write_b16 v19, v24
	ds_write_b16 v19, v15 offset:4
	ds_write_b16 v20, v27
	ds_write_b16 v20, v16 offset:4
	ds_write_b16 v14, v28
	ds_write_b16 v14, v22 offset:4
	s_waitcnt lgkmcnt(0)
	s_barrier
	buffer_gl0_inv
	global_load_dword v14, v26, s[12:13] offset:8
	ds_read_u16 v15, v11 offset:1056
	ds_read_u16 v16, v11 offset:1408
	;; [unrolled: 1-line block ×3, first 2 shown]
	ds_read_u16 v27, v11
	ds_read_u16 v28, v11 offset:352
	ds_read_u16 v29, v11 offset:704
	v_and_b32_e32 v24, 7, v7
	v_and_or_b32 v20, 0x1f8, v21, v18
	v_and_or_b32 v22, 0x3f8, v13, v18
	;; [unrolled: 1-line block ×3, first 2 shown]
	s_waitcnt vmcnt(0) lgkmcnt(0)
	v_lshlrev_b32_e32 v26, 2, v24
	v_lshl_add_u32 v20, v20, 1, 0
	v_lshl_add_u32 v22, v22, 1, 0
	;; [unrolled: 1-line block ×3, first 2 shown]
	s_barrier
	buffer_gl0_inv
	v_and_or_b32 v13, 0x3f0, v13, v24
	v_and_or_b32 v17, 0x7f0, v17, v24
	v_mul_f16_sdwa v31, v12, v14 dst_sel:DWORD dst_unused:UNUSED_PAD src0_sel:DWORD src1_sel:WORD_1
	v_mul_f16_sdwa v30, v15, v14 dst_sel:DWORD dst_unused:UNUSED_PAD src0_sel:DWORD src1_sel:WORD_1
	;; [unrolled: 1-line block ×6, first 2 shown]
	v_fmac_f16_e32 v31, v15, v14
	v_fma_f16 v12, v12, v14, -v30
	v_fma_f16 v9, v9, v14, -v32
	v_fmac_f16_e32 v33, v16, v14
	v_fma_f16 v10, v10, v14, -v34
	v_fmac_f16_e32 v35, v19, v14
	v_sub_f16_e32 v14, v27, v31
	v_sub_f16_e32 v12, v0, v12
	;; [unrolled: 1-line block ×6, first 2 shown]
	v_fma_f16 v19, v27, 2.0, -v14
	v_fma_f16 v0, v0, 2.0, -v12
	;; [unrolled: 1-line block ×6, first 2 shown]
	ds_write_b16 v20, v12 offset:8
	ds_write_b16 v20, v0
	ds_write_b16 v22, v8
	ds_write_b16 v22, v9 offset:8
	ds_write_b16 v18, v25
	ds_write_b16 v18, v10 offset:8
	s_waitcnt lgkmcnt(0)
	s_barrier
	buffer_gl0_inv
	ds_read_u16 v25, v11
	ds_read_u16 v34, v11 offset:352
	ds_read_u16 v9, v11 offset:1408
	;; [unrolled: 1-line block ×5, first 2 shown]
	s_waitcnt lgkmcnt(0)
	s_barrier
	buffer_gl0_inv
	ds_write_b16 v20, v19
	ds_write_b16 v20, v14 offset:8
	ds_write_b16 v22, v27
	ds_write_b16 v22, v15 offset:8
	;; [unrolled: 2-line block ×3, first 2 shown]
	s_waitcnt lgkmcnt(0)
	s_barrier
	buffer_gl0_inv
	global_load_dword v12, v26, s[12:13] offset:24
	ds_read_u16 v16, v11 offset:1056
	ds_read_u16 v20, v11 offset:1408
	;; [unrolled: 1-line block ×3, first 2 shown]
	ds_read_u16 v30, v11
	ds_read_u16 v31, v11 offset:352
	ds_read_u16 v29, v11 offset:704
	v_and_or_b32 v0, 0x1f0, v21, v24
	v_sub_nc_u32_e32 v14, 0, v21
	v_lshl_add_u32 v32, v13, 1, 0
	v_lshl_add_u32 v33, v17, 1, 0
	s_waitcnt vmcnt(0) lgkmcnt(0)
	v_lshl_add_u32 v22, v0, 1, 0
	v_add_nc_u32_e32 v0, v23, v14
	s_barrier
	buffer_gl0_inv
                                        ; implicit-def: $vgpr21
                                        ; implicit-def: $vgpr23
                                        ; implicit-def: $vgpr24
                                        ; implicit-def: $vgpr26
	v_mul_f16_sdwa v11, v16, v12 dst_sel:DWORD dst_unused:UNUSED_PAD src0_sel:DWORD src1_sel:WORD_1
	v_mul_f16_sdwa v18, v20, v12 dst_sel:DWORD dst_unused:UNUSED_PAD src0_sel:DWORD src1_sel:WORD_1
	;; [unrolled: 1-line block ×3, first 2 shown]
	v_fma_f16 v11, v10, v12, -v11
	v_fma_f16 v18, v9, v12, -v18
	;; [unrolled: 1-line block ×3, first 2 shown]
	v_sub_f16_e32 v14, v25, v11
	v_sub_f16_e32 v11, v34, v18
	;; [unrolled: 1-line block ×3, first 2 shown]
	v_fma_f16 v17, v25, 2.0, -v14
	v_fma_f16 v18, v34, 2.0, -v11
	;; [unrolled: 1-line block ×3, first 2 shown]
	ds_write_b16 v22, v14 offset:16
	ds_write_b16 v22, v17
	ds_write_b16 v32, v18
	ds_write_b16 v32, v11 offset:16
	ds_write_b16 v33, v19
	ds_write_b16 v33, v13 offset:16
	s_waitcnt lgkmcnt(0)
	s_barrier
	buffer_gl0_inv
                                        ; implicit-def: $vgpr25
	s_and_saveexec_b32 s1, s0
	s_cbranch_execz .LBB0_15
; %bb.14:
	ds_read_u16 v17, v0
	ds_read_u16 v14, v0 offset:192
	ds_read_u16 v18, v0 offset:384
	;; [unrolled: 1-line block ×10, first 2 shown]
.LBB0_15:
	s_or_b32 exec_lo, exec_lo, s1
	v_mul_f16_sdwa v10, v10, v12 dst_sel:DWORD dst_unused:UNUSED_PAD src0_sel:DWORD src1_sel:WORD_1
	v_mul_f16_sdwa v9, v9, v12 dst_sel:DWORD dst_unused:UNUSED_PAD src0_sel:DWORD src1_sel:WORD_1
	;; [unrolled: 1-line block ×3, first 2 shown]
	s_waitcnt lgkmcnt(0)
	s_barrier
	v_fmac_f16_e32 v10, v16, v12
	v_fmac_f16_e32 v9, v20, v12
	;; [unrolled: 1-line block ×3, first 2 shown]
	buffer_gl0_inv
                                        ; implicit-def: $vgpr38
                                        ; implicit-def: $vgpr39
                                        ; implicit-def: $vgpr40
                                        ; implicit-def: $vgpr42
                                        ; implicit-def: $vgpr41
	v_sub_f16_e32 v27, v30, v10
	v_sub_f16_e32 v28, v31, v9
	;; [unrolled: 1-line block ×3, first 2 shown]
	v_fma_f16 v12, v30, 2.0, -v27
	v_fma_f16 v37, v31, 2.0, -v28
	;; [unrolled: 1-line block ×3, first 2 shown]
	ds_write_b16 v22, v27 offset:16
	ds_write_b16 v22, v12
	ds_write_b16 v32, v37
	ds_write_b16 v32, v28 offset:16
	ds_write_b16 v33, v36
	ds_write_b16 v33, v34 offset:16
	s_waitcnt lgkmcnt(0)
	s_barrier
	buffer_gl0_inv
	s_and_saveexec_b32 s1, s0
	s_cbranch_execz .LBB0_17
; %bb.16:
	v_lshl_add_u32 v8, v7, 1, 0
	ds_read_u16 v36, v8 offset:768
	ds_read_u16 v27, v0 offset:192
	ds_read_u16 v37, v0 offset:384
	ds_read_u16 v28, v0 offset:576
	ds_read_u16 v34, v0 offset:960
	ds_read_u16 v41, v0 offset:1152
	ds_read_u16 v12, v0
	ds_read_u16 v40, v8 offset:1536
	ds_read_u16 v42, v0 offset:1344
	;; [unrolled: 1-line block ×4, first 2 shown]
.LBB0_17:
	s_or_b32 exec_lo, exec_lo, s1
	v_and_b32_e32 v8, 15, v7
	v_mul_u32_u24_e32 v9, 10, v8
	v_lshlrev_b32_e32 v9, 2, v9
	s_clause 0x2
	global_load_dwordx4 v[43:46], v9, s[12:13] offset:56
	global_load_dwordx4 v[47:50], v9, s[12:13] offset:72
	global_load_dwordx2 v[51:52], v9, s[12:13] offset:88
	s_waitcnt vmcnt(0) lgkmcnt(0)
	s_barrier
	buffer_gl0_inv
	v_mul_f16_sdwa v32, v27, v43 dst_sel:DWORD dst_unused:UNUSED_PAD src0_sel:DWORD src1_sel:WORD_1
	v_mul_f16_sdwa v33, v14, v43 dst_sel:DWORD dst_unused:UNUSED_PAD src0_sel:DWORD src1_sel:WORD_1
	v_mul_f16_sdwa v53, v37, v44 dst_sel:DWORD dst_unused:UNUSED_PAD src0_sel:DWORD src1_sel:WORD_1
	v_mul_f16_sdwa v31, v18, v44 dst_sel:DWORD dst_unused:UNUSED_PAD src0_sel:DWORD src1_sel:WORD_1
	v_mul_f16_sdwa v54, v28, v45 dst_sel:DWORD dst_unused:UNUSED_PAD src0_sel:DWORD src1_sel:WORD_1
	v_mul_f16_sdwa v20, v11, v45 dst_sel:DWORD dst_unused:UNUSED_PAD src0_sel:DWORD src1_sel:WORD_1
	v_mul_f16_sdwa v55, v36, v46 dst_sel:DWORD dst_unused:UNUSED_PAD src0_sel:DWORD src1_sel:WORD_1
	v_mul_f16_sdwa v15, v19, v46 dst_sel:DWORD dst_unused:UNUSED_PAD src0_sel:DWORD src1_sel:WORD_1
	v_mul_f16_sdwa v56, v34, v47 dst_sel:DWORD dst_unused:UNUSED_PAD src0_sel:DWORD src1_sel:WORD_1
	v_mul_f16_sdwa v9, v13, v47 dst_sel:DWORD dst_unused:UNUSED_PAD src0_sel:DWORD src1_sel:WORD_1
	v_mul_f16_sdwa v57, v41, v48 dst_sel:DWORD dst_unused:UNUSED_PAD src0_sel:DWORD src1_sel:WORD_1
	v_mul_f16_sdwa v10, v26, v48 dst_sel:DWORD dst_unused:UNUSED_PAD src0_sel:DWORD src1_sel:WORD_1
	v_mul_f16_sdwa v58, v42, v49 dst_sel:DWORD dst_unused:UNUSED_PAD src0_sel:DWORD src1_sel:WORD_1
	v_mul_f16_sdwa v16, v25, v49 dst_sel:DWORD dst_unused:UNUSED_PAD src0_sel:DWORD src1_sel:WORD_1
	v_mul_f16_sdwa v59, v40, v50 dst_sel:DWORD dst_unused:UNUSED_PAD src0_sel:DWORD src1_sel:WORD_1
	v_mul_f16_sdwa v22, v24, v50 dst_sel:DWORD dst_unused:UNUSED_PAD src0_sel:DWORD src1_sel:WORD_1
	v_mul_f16_sdwa v60, v39, v51 dst_sel:DWORD dst_unused:UNUSED_PAD src0_sel:DWORD src1_sel:WORD_1
	v_mul_f16_sdwa v29, v23, v51 dst_sel:DWORD dst_unused:UNUSED_PAD src0_sel:DWORD src1_sel:WORD_1
	v_mul_f16_sdwa v61, v38, v52 dst_sel:DWORD dst_unused:UNUSED_PAD src0_sel:DWORD src1_sel:WORD_1
	v_mul_f16_sdwa v30, v21, v52 dst_sel:DWORD dst_unused:UNUSED_PAD src0_sel:DWORD src1_sel:WORD_1
	v_fma_f16 v35, v14, v43, -v32
	v_fmac_f16_e32 v33, v27, v43
	v_fma_f16 v32, v18, v44, -v53
	v_fmac_f16_e32 v31, v37, v44
	;; [unrolled: 2-line block ×10, first 2 shown]
	v_lshrrev_b32_e32 v11, 4, v7
	s_and_saveexec_b32 s1, s0
	s_cbranch_execz .LBB0_19
; %bb.18:
	v_sub_f16_e32 v24, v33, v30
	v_add_f16_e32 v23, v35, v36
	v_sub_f16_e32 v26, v31, v29
	v_add_f16_e32 v25, v32, v34
	v_sub_f16_e32 v38, v20, v22
	v_mul_f16_e32 v43, 0xb482, v24
	v_add_f16_e32 v37, v27, v28
	v_mul_f16_e32 v44, 0x3853, v26
	v_sub_f16_e32 v40, v15, v16
	v_mul_f16_e32 v45, 0xba0c, v38
	v_fmamk_f16 v48, v23, 0xbbad, v43
	v_add_f16_e32 v39, v18, v19
	v_fmamk_f16 v51, v25, 0x3abb, v44
	v_sub_f16_e32 v42, v9, v10
	v_mul_f16_e32 v46, 0x3b47, v40
	v_add_f16_e32 v48, v17, v48
	v_fmamk_f16 v52, v37, 0xb93d, v45
	v_fma_f16 v43, v23, 0xbbad, -v43
	v_add_f16_e32 v41, v13, v14
	v_mul_f16_e32 v47, 0xbbeb, v42
	v_add_f16_e32 v48, v51, v48
	v_mul_f16_e32 v49, 0xba0c, v24
	v_fmamk_f16 v53, v39, 0x36a6, v46
	v_fma_f16 v44, v25, 0x3abb, -v44
	v_add_f16_e32 v43, v17, v43
	v_add_f16_e32 v48, v52, v48
	v_mul_f16_e32 v50, 0x3beb, v26
	v_fmamk_f16 v51, v41, 0xb08e, v47
	v_fma_f16 v45, v37, 0xb93d, -v45
	v_fmamk_f16 v52, v23, 0xb93d, v49
	v_add_f16_e32 v43, v44, v43
	v_add_f16_e32 v44, v53, v48
	v_fma_f16 v46, v39, 0x36a6, -v46
	v_mul_f16_e32 v53, 0x3482, v26
	v_add_f16_e32 v48, v17, v52
	v_add_f16_e32 v43, v45, v43
	v_add_f16_e32 v44, v51, v44
	v_fmamk_f16 v45, v25, 0xb08e, v50
	v_mul_f16_e32 v51, 0xb853, v38
	v_mul_f16_e32 v52, 0xbbeb, v24
	v_add_f16_e32 v43, v46, v43
	v_fma_f16 v46, v41, 0xb08e, -v47
	v_fma_f16 v47, v23, 0xb93d, -v49
	v_add_f16_e32 v45, v45, v48
	v_fmamk_f16 v48, v37, 0x3abb, v51
	v_mul_f16_e32 v49, 0xb482, v40
	v_add_f16_e32 v43, v46, v43
	v_add_f16_e32 v46, v17, v47
	v_fma_f16 v47, v25, 0xb08e, -v50
	v_add_f16_e32 v45, v48, v45
	v_fmamk_f16 v48, v39, 0xbbad, v49
	v_mul_f16_e32 v50, 0x3b47, v42
	v_mul_f16_e32 v54, 0xbb47, v24
	v_add_f16_e32 v46, v47, v46
	v_fma_f16 v47, v37, 0x3abb, -v51
	v_add_f16_e32 v45, v48, v45
	v_fmamk_f16 v48, v41, 0x36a6, v50
	v_fmamk_f16 v51, v23, 0xb08e, v52
	v_add_f16_e32 v21, v17, v35
	v_add_f16_e32 v46, v47, v46
	v_fma_f16 v47, v39, 0xbbad, -v49
	v_add_f16_e32 v45, v48, v45
	v_add_f16_e32 v48, v17, v51
	v_fmamk_f16 v49, v25, 0xbbad, v53
	v_mul_f16_e32 v51, 0x3b47, v38
	v_add_f16_e32 v46, v47, v46
	v_fma_f16 v47, v41, 0x36a6, -v50
	v_fma_f16 v50, v23, 0xb08e, -v52
	v_add_f16_e32 v48, v49, v48
	v_fmamk_f16 v49, v37, 0x36a6, v51
	v_mul_f16_e32 v52, 0xb853, v40
	v_add_f16_e32 v46, v47, v46
	v_add_f16_e32 v47, v17, v50
	v_fma_f16 v50, v25, 0xbbad, -v53
	v_add_f16_e32 v48, v49, v48
	v_fmamk_f16 v49, v39, 0x3abb, v52
	v_mul_f16_e32 v53, 0xba0c, v42
	v_mul_f16_e32 v55, 0xba0c, v26
	v_add_f16_e32 v47, v50, v47
	v_fma_f16 v50, v37, 0x36a6, -v51
	v_add_f16_e32 v48, v49, v48
	v_fmamk_f16 v49, v41, 0xb93d, v53
	v_fmamk_f16 v51, v23, 0x36a6, v54
	v_add_f16_e32 v21, v21, v32
	v_add_f16_e32 v47, v50, v47
	v_fma_f16 v50, v39, 0x3abb, -v52
	v_add_f16_e32 v48, v49, v48
	v_add_f16_e32 v49, v17, v51
	v_fmamk_f16 v51, v25, 0xb93d, v55
	v_mul_f16_e32 v52, 0x3482, v38
	v_add_f16_e32 v21, v21, v27
	v_add_f16_e32 v47, v50, v47
	v_fma_f16 v50, v41, 0xb93d, -v53
	v_fma_f16 v53, v23, 0x36a6, -v54
	v_add_f16_e32 v49, v51, v49
	v_fmamk_f16 v51, v37, 0xbbad, v52
	v_mul_f16_e32 v54, 0x3beb, v40
	v_add_f16_e32 v21, v21, v18
	v_mul_f16_e32 v24, 0xb853, v24
	v_mul_f16_e32 v26, 0xbb47, v26
	v_add_f16_e32 v49, v51, v49
	v_fmamk_f16 v51, v39, 0xb08e, v54
	v_add_f16_e32 v21, v21, v13
	v_mul_f16_e32 v38, 0xbbeb, v38
	v_add_f16_e32 v47, v50, v47
	v_add_f16_e32 v50, v17, v53
	;; [unrolled: 1-line block ×3, first 2 shown]
	v_fma_f16 v51, v23, 0x3abb, -v24
	v_add_f16_e32 v21, v21, v14
	v_fmamk_f16 v23, v23, 0x3abb, v24
	v_fma_f16 v53, v25, 0xb93d, -v55
	v_fma_f16 v52, v37, 0xbbad, -v52
	v_add_f16_e32 v24, v17, v51
	v_fma_f16 v51, v25, 0x36a6, -v26
	v_add_f16_e32 v21, v21, v19
	v_add_f16_e32 v17, v17, v23
	v_fmamk_f16 v23, v25, 0x36a6, v26
	v_fma_f16 v25, v37, 0xb08e, -v38
	v_add_f16_e32 v24, v51, v24
	v_mul_f16_e32 v26, 0xba0c, v40
	v_add_f16_e32 v50, v53, v50
	v_add_f16_e32 v21, v21, v28
	;; [unrolled: 1-line block ×3, first 2 shown]
	v_fmamk_f16 v23, v37, 0xb08e, v38
	v_add_f16_e32 v24, v25, v24
	v_fma_f16 v25, v39, 0xb93d, -v26
	v_mul_u32_u24_e32 v37, 0xb0, v11
	v_mul_f16_e32 v38, 0xb482, v42
	v_mul_f16_e32 v55, 0x3853, v42
	v_add_f16_e32 v50, v52, v50
	v_fma_f16 v52, v39, 0xb08e, -v54
	v_add_f16_e32 v21, v21, v34
	v_add_f16_e32 v17, v23, v17
	v_fmamk_f16 v23, v39, 0xb93d, v26
	v_add_f16_e32 v24, v25, v24
	v_or_b32_e32 v25, v37, v8
	v_fma_f16 v26, v41, 0xbbad, -v38
	v_add_f16_e32 v40, v52, v50
	v_fma_f16 v37, v41, 0x3abb, -v55
	v_add_f16_e32 v21, v21, v36
	v_fmamk_f16 v53, v41, 0x3abb, v55
	v_add_f16_e32 v17, v23, v17
	v_fmamk_f16 v23, v41, 0xbbad, v38
	v_lshl_add_u32 v25, v25, 1, 0
	v_add_f16_e32 v24, v26, v24
	v_add_f16_e32 v26, v37, v40
	;; [unrolled: 1-line block ×4, first 2 shown]
	ds_write_b16 v25, v21
	ds_write_b16 v25, v24 offset:32
	ds_write_b16 v25, v26 offset:64
	;; [unrolled: 1-line block ×10, first 2 shown]
.LBB0_19:
	s_or_b32 exec_lo, exec_lo, s1
	s_waitcnt lgkmcnt(0)
	s_barrier
	buffer_gl0_inv
	ds_read_u16 v17, v0
	ds_read_u16 v21, v0 offset:352
	ds_read_u16 v25, v0 offset:704
	;; [unrolled: 1-line block ×5, first 2 shown]
	s_waitcnt lgkmcnt(0)
	s_barrier
	buffer_gl0_inv
	s_and_saveexec_b32 s1, s0
	s_cbranch_execz .LBB0_21
; %bb.20:
	v_add_f16_e32 v37, v12, v33
	v_sub_f16_e32 v35, v35, v36
	v_add_f16_e32 v36, v31, v29
	v_add_f16_e32 v33, v33, v30
	v_sub_f16_e32 v32, v32, v34
	v_add_f16_e32 v31, v37, v31
	v_mul_f16_e32 v37, 0xbb47, v35
	v_mul_f16_e32 v38, 0xbbeb, v35
	;; [unrolled: 1-line block ×4, first 2 shown]
	v_add_f16_e32 v31, v31, v20
	v_fmamk_f16 v44, v33, 0x36a6, v37
	v_fma_f16 v37, v33, 0x36a6, -v37
	v_mul_f16_e32 v39, 0xba0c, v35
	v_mul_f16_e32 v35, 0xb482, v35
	v_add_f16_e32 v31, v31, v15
	v_mul_f16_e32 v42, 0x3482, v32
	v_fmamk_f16 v45, v33, 0xb08e, v38
	v_fma_f16 v38, v33, 0xb08e, -v38
	v_add_f16_e32 v37, v12, v37
	v_add_f16_e32 v31, v31, v9
	v_mul_f16_e32 v40, 0xbb47, v32
	v_fmamk_f16 v43, v33, 0x3abb, v34
	v_fmamk_f16 v46, v33, 0xb93d, v39
	v_fma_f16 v39, v33, 0xb93d, -v39
	v_add_f16_e32 v31, v31, v10
	v_fmamk_f16 v47, v33, 0xbbad, v35
	v_fmamk_f16 v48, v36, 0xb93d, v41
	v_add_f16_e32 v38, v12, v38
	v_sub_f16_e32 v27, v27, v28
	v_add_f16_e32 v31, v31, v16
	v_fma_f16 v34, v33, 0x3abb, -v34
	v_fma_f16 v33, v33, 0xbbad, -v35
	v_fmamk_f16 v35, v36, 0x36a6, v40
	v_add_f16_e32 v43, v12, v43
	v_add_f16_e32 v31, v31, v22
	;; [unrolled: 1-line block ×3, first 2 shown]
	v_mul_f16_e32 v22, 0xbbeb, v27
	v_fma_f16 v40, v36, 0x36a6, -v40
	v_add_f16_e32 v34, v12, v34
	v_add_f16_e32 v29, v31, v29
	;; [unrolled: 1-line block ×7, first 2 shown]
	v_fma_f16 v30, v36, 0xb93d, -v41
	v_fma_f16 v41, v36, 0xbbad, -v42
	v_add_f16_e32 v46, v12, v46
	v_add_f16_e32 v12, v12, v33
	;; [unrolled: 1-line block ×4, first 2 shown]
	v_mul_f16_e32 v37, 0x3beb, v32
	v_mul_f16_e32 v32, 0x3853, v32
	v_add_f16_e32 v38, v41, v38
	v_fmamk_f16 v35, v36, 0xbbad, v42
	v_add_f16_e32 v34, v40, v34
	v_fmamk_f16 v28, v36, 0xb08e, v37
	v_fma_f16 v37, v36, 0xb08e, -v37
	v_fmamk_f16 v41, v36, 0x3abb, v32
	v_fma_f16 v32, v36, 0x3abb, -v32
	v_add_f16_e32 v35, v35, v45
	v_sub_f16_e32 v18, v18, v19
	v_add_f16_e32 v31, v37, v31
	v_add_f16_e32 v36, v41, v39
	v_fmamk_f16 v37, v20, 0xb08e, v22
	v_mul_f16_e32 v39, 0x3482, v27
	v_add_f16_e32 v12, v32, v12
	v_fma_f16 v22, v20, 0xb08e, -v22
	v_mul_f16_e32 v32, 0x3b47, v27
	v_add_f16_e32 v33, v37, v33
	v_fmamk_f16 v37, v20, 0xbbad, v39
	v_fma_f16 v39, v20, 0xbbad, -v39
	v_add_f16_e32 v22, v22, v34
	v_fmamk_f16 v34, v20, 0x36a6, v32
	v_add_f16_e32 v28, v28, v46
	v_fma_f16 v32, v20, 0x36a6, -v32
	v_add_f16_e32 v30, v39, v30
	v_mul_f16_e32 v39, 0xb853, v27
	v_add_f16_e32 v34, v34, v35
	v_mul_f16_e32 v19, 0xba0c, v27
	;; [unrolled: 2-line block ×3, first 2 shown]
	v_fmamk_f16 v27, v20, 0x3abb, v39
	v_fma_f16 v35, v20, 0x3abb, -v39
	v_add_f16_e32 v40, v48, v44
	v_add_f16_e32 v32, v32, v38
	v_fmamk_f16 v38, v20, 0xb93d, v19
	v_add_f16_e32 v27, v27, v28
	v_add_f16_e32 v28, v35, v31
	v_fma_f16 v19, v20, 0xb93d, -v19
	v_fmamk_f16 v20, v15, 0xb93d, v16
	v_mul_f16_e32 v35, 0x3beb, v18
	v_fma_f16 v16, v15, 0xb93d, -v16
	v_add_f16_e32 v37, v37, v40
	v_add_f16_e32 v12, v19, v12
	;; [unrolled: 1-line block ×3, first 2 shown]
	v_mul_f16_e32 v20, 0xb853, v18
	v_fmamk_f16 v33, v15, 0xb08e, v35
	v_add_f16_e32 v16, v16, v22
	v_mul_f16_e32 v22, 0xb482, v18
	v_mul_f16_e32 v18, 0x3b47, v18
	v_sub_f16_e32 v13, v13, v14
	v_add_f16_e32 v31, v38, v36
	v_fma_f16 v35, v15, 0xb08e, -v35
	v_fmamk_f16 v36, v15, 0x3abb, v20
	v_add_f16_e32 v33, v33, v37
	v_fma_f16 v20, v15, 0x3abb, -v20
	v_fmamk_f16 v37, v15, 0xbbad, v22
	v_fma_f16 v14, v15, 0xbbad, -v22
	v_fmamk_f16 v22, v15, 0x36a6, v18
	v_fma_f16 v15, v15, 0x36a6, -v18
	v_add_f16_e32 v9, v9, v10
	v_mul_f16_e32 v18, 0x3853, v13
	v_mul_f16_e32 v10, 0xb482, v13
	v_add_f16_e32 v30, v35, v30
	v_add_f16_e32 v14, v14, v28
	;; [unrolled: 1-line block ×3, first 2 shown]
	v_fmamk_f16 v28, v9, 0x3abb, v18
	v_fma_f16 v18, v9, 0x3abb, -v18
	v_add_f16_e32 v12, v15, v12
	v_fmamk_f16 v15, v9, 0xbbad, v10
	v_fma_f16 v10, v9, 0xbbad, -v10
	v_mul_f16_e32 v31, 0xba0c, v13
	v_mul_u32_u24_e32 v11, 0xb0, v11
	v_add_f16_e32 v18, v18, v30
	v_mul_f16_e32 v30, 0x3b47, v13
	v_add_f16_e32 v20, v20, v32
	v_add_f16_e32 v10, v10, v16
	;; [unrolled: 1-line block ×3, first 2 shown]
	v_fma_f16 v28, v9, 0xb93d, -v31
	v_mul_f16_e32 v13, 0xbbeb, v13
	v_or_b32_e32 v8, v11, v8
	v_add_f16_e32 v34, v36, v34
	v_add_f16_e32 v15, v15, v19
	v_fmamk_f16 v19, v9, 0xb93d, v31
	v_add_f16_e32 v27, v37, v27
	v_fmamk_f16 v11, v9, 0x36a6, v30
	v_add_f16_e32 v20, v28, v20
	v_fma_f16 v28, v9, 0x36a6, -v30
	v_fmamk_f16 v30, v9, 0xb08e, v13
	v_fma_f16 v9, v9, 0xb08e, -v13
	v_lshl_add_u32 v8, v8, 1, 0
	v_add_f16_e32 v19, v19, v34
	v_add_f16_e32 v11, v11, v27
	;; [unrolled: 1-line block ×5, first 2 shown]
	ds_write_b16 v8, v29
	ds_write_b16 v8, v15 offset:32
	ds_write_b16 v8, v16 offset:64
	;; [unrolled: 1-line block ×10, first 2 shown]
.LBB0_21:
	s_or_b32 exec_lo, exec_lo, s1
	s_waitcnt lgkmcnt(0)
	s_barrier
	buffer_gl0_inv
	s_and_saveexec_b32 s0, vcc_lo
	s_cbranch_execz .LBB0_23
; %bb.22:
	v_mul_u32_u24_e32 v7, 5, v7
	v_mul_lo_u32 v12, s3, v3
	v_mul_lo_u32 v13, s2, v4
	v_mad_u64_u32 v[3:4], null, s2, v3, 0
	v_lshlrev_b32_e32 v11, 2, v7
	v_lshlrev_b64 v[1:2], 2, v[1:2]
	s_clause 0x1
	global_load_dwordx4 v[7:10], v11, s[12:13] offset:696
	global_load_dword v11, v11, s[12:13] offset:712
	v_add3_u32 v4, v4, v13, v12
	ds_read_u16 v12, v0 offset:1760
	ds_read_u16 v13, v0 offset:1408
	;; [unrolled: 1-line block ×5, first 2 shown]
	ds_read_u16 v0, v0
	v_lshlrev_b64 v[3:4], 2, v[3:4]
	v_add_co_u32 v18, vcc_lo, s10, v3
	v_add_co_ci_u32_e32 v19, vcc_lo, s11, v4, vcc_lo
	v_lshlrev_b64 v[3:4], 2, v[5:6]
	v_add_co_u32 v1, vcc_lo, v18, v1
	v_add_co_ci_u32_e32 v2, vcc_lo, v19, v2, vcc_lo
	v_add_co_u32 v1, vcc_lo, v1, v3
	v_add_co_ci_u32_e32 v2, vcc_lo, v2, v4, vcc_lo
	;; [unrolled: 2-line block ×3, first 2 shown]
	s_waitcnt vmcnt(1) lgkmcnt(4)
	v_mul_f16_sdwa v6, v13, v10 dst_sel:DWORD dst_unused:UNUSED_PAD src0_sel:DWORD src1_sel:WORD_1
	v_mul_f16_sdwa v18, v25, v8 dst_sel:DWORD dst_unused:UNUSED_PAD src0_sel:DWORD src1_sel:WORD_1
	;; [unrolled: 1-line block ×3, first 2 shown]
	s_waitcnt lgkmcnt(3)
	v_mul_f16_sdwa v22, v14, v9 dst_sel:DWORD dst_unused:UNUSED_PAD src0_sel:DWORD src1_sel:WORD_1
	s_waitcnt vmcnt(0)
	v_mul_f16_sdwa v27, v12, v11 dst_sel:DWORD dst_unused:UNUSED_PAD src0_sel:DWORD src1_sel:WORD_1
	v_mul_f16_sdwa v28, v23, v9 dst_sel:DWORD dst_unused:UNUSED_PAD src0_sel:DWORD src1_sel:WORD_1
	;; [unrolled: 1-line block ×3, first 2 shown]
	s_waitcnt lgkmcnt(2)
	v_mul_f16_sdwa v5, v15, v8 dst_sel:DWORD dst_unused:UNUSED_PAD src0_sel:DWORD src1_sel:WORD_1
	s_waitcnt lgkmcnt(1)
	v_mul_f16_sdwa v20, v16, v7 dst_sel:DWORD dst_unused:UNUSED_PAD src0_sel:DWORD src1_sel:WORD_1
	v_mul_f16_sdwa v30, v21, v7 dst_sel:DWORD dst_unused:UNUSED_PAD src0_sel:DWORD src1_sel:WORD_1
	v_fma_f16 v6, v26, v10, -v6
	v_fmac_f16_e32 v18, v8, v15
	v_fmac_f16_e32 v19, v10, v13
	v_fma_f16 v10, v23, v9, -v22
	v_fma_f16 v13, v24, v11, -v27
	v_fmac_f16_e32 v28, v9, v14
	v_fmac_f16_e32 v29, v11, v12
	v_fma_f16 v5, v25, v8, -v5
	v_fma_f16 v8, v21, v7, -v20
	v_fmac_f16_e32 v30, v7, v16
	v_add_f16_e32 v9, v18, v19
	v_add_f16_e32 v11, v10, v13
	;; [unrolled: 1-line block ×3, first 2 shown]
	v_sub_f16_e32 v7, v5, v6
	v_sub_f16_e32 v12, v28, v29
	;; [unrolled: 1-line block ×3, first 2 shown]
	s_waitcnt lgkmcnt(0)
	v_add_f16_e32 v16, v18, v0
	v_add_f16_e32 v20, v30, v28
	;; [unrolled: 1-line block ×5, first 2 shown]
	v_fma_f16 v0, -0.5, v9, v0
	v_fma_f16 v8, -0.5, v11, v8
	;; [unrolled: 1-line block ×3, first 2 shown]
	v_add_f16_e32 v11, v19, v16
	v_add_f16_e32 v15, v20, v29
	v_fma_f16 v16, -0.5, v21, v17
	v_add_f16_e32 v5, v5, v6
	v_add_f16_e32 v6, v10, v13
	v_fmamk_f16 v13, v12, 0xbaee, v8
	v_fmamk_f16 v17, v14, 0x3aee, v9
	v_fmac_f16_e32 v9, 0xbaee, v14
	v_fmac_f16_e32 v8, 0x3aee, v12
	v_sub_f16_e32 v18, v18, v19
	v_fmamk_f16 v10, v7, 0x3aee, v0
	v_fmac_f16_e32 v0, 0xbaee, v7
	v_sub_f16_e32 v7, v11, v15
	v_sub_f16_e32 v14, v5, v6
	v_add_f16_e32 v11, v11, v15
	v_add_f16_e32 v5, v5, v6
	v_mul_f16_e32 v6, -0.5, v17
	v_mul_f16_e32 v15, 0xbaee, v8
	v_mul_f16_e32 v19, 0x3aee, v9
	v_fmamk_f16 v12, v18, 0xbaee, v16
	v_fmac_f16_e32 v16, 0x3aee, v18
	v_mul_f16_e32 v18, -0.5, v13
	v_fmac_f16_e32 v6, 0xbaee, v13
	v_fmac_f16_e32 v15, 0.5, v9
	v_fmac_f16_e32 v19, 0.5, v8
	v_pack_b32_f16 v5, v5, v11
	v_fmac_f16_e32 v18, 0x3aee, v17
	v_sub_f16_e32 v8, v10, v6
	v_sub_f16_e32 v9, v0, v15
	v_add_f16_e32 v6, v10, v6
	v_add_f16_e32 v0, v0, v15
	;; [unrolled: 1-line block ×4, first 2 shown]
	v_sub_f16_e32 v13, v16, v19
	v_sub_f16_e32 v12, v12, v18
	v_pack_b32_f16 v7, v14, v7
	v_pack_b32_f16 v0, v10, v0
	global_store_dword v[1:2], v5, off
	v_pack_b32_f16 v5, v11, v6
	v_pack_b32_f16 v6, v13, v9
	;; [unrolled: 1-line block ×3, first 2 shown]
	global_store_dword v[3:4], v7, off offset:64
	global_store_dword v[1:2], v0, off offset:704
	;; [unrolled: 1-line block ×5, first 2 shown]
.LBB0_23:
	s_endpgm
	.section	.rodata,"a",@progbits
	.p2align	6, 0x0
	.amdhsa_kernel fft_rtc_fwd_len1056_factors_2_2_2_2_11_6_wgs_176_tpt_176_halfLds_half_op_CI_CI_unitstride_sbrr_dirReg
		.amdhsa_group_segment_fixed_size 0
		.amdhsa_private_segment_fixed_size 0
		.amdhsa_kernarg_size 104
		.amdhsa_user_sgpr_count 6
		.amdhsa_user_sgpr_private_segment_buffer 1
		.amdhsa_user_sgpr_dispatch_ptr 0
		.amdhsa_user_sgpr_queue_ptr 0
		.amdhsa_user_sgpr_kernarg_segment_ptr 1
		.amdhsa_user_sgpr_dispatch_id 0
		.amdhsa_user_sgpr_flat_scratch_init 0
		.amdhsa_user_sgpr_private_segment_size 0
		.amdhsa_wavefront_size32 1
		.amdhsa_uses_dynamic_stack 0
		.amdhsa_system_sgpr_private_segment_wavefront_offset 0
		.amdhsa_system_sgpr_workgroup_id_x 1
		.amdhsa_system_sgpr_workgroup_id_y 0
		.amdhsa_system_sgpr_workgroup_id_z 0
		.amdhsa_system_sgpr_workgroup_info 0
		.amdhsa_system_vgpr_workitem_id 0
		.amdhsa_next_free_vgpr 62
		.amdhsa_next_free_sgpr 27
		.amdhsa_reserve_vcc 1
		.amdhsa_reserve_flat_scratch 0
		.amdhsa_float_round_mode_32 0
		.amdhsa_float_round_mode_16_64 0
		.amdhsa_float_denorm_mode_32 3
		.amdhsa_float_denorm_mode_16_64 3
		.amdhsa_dx10_clamp 1
		.amdhsa_ieee_mode 1
		.amdhsa_fp16_overflow 0
		.amdhsa_workgroup_processor_mode 1
		.amdhsa_memory_ordered 1
		.amdhsa_forward_progress 0
		.amdhsa_shared_vgpr_count 0
		.amdhsa_exception_fp_ieee_invalid_op 0
		.amdhsa_exception_fp_denorm_src 0
		.amdhsa_exception_fp_ieee_div_zero 0
		.amdhsa_exception_fp_ieee_overflow 0
		.amdhsa_exception_fp_ieee_underflow 0
		.amdhsa_exception_fp_ieee_inexact 0
		.amdhsa_exception_int_div_zero 0
	.end_amdhsa_kernel
	.text
.Lfunc_end0:
	.size	fft_rtc_fwd_len1056_factors_2_2_2_2_11_6_wgs_176_tpt_176_halfLds_half_op_CI_CI_unitstride_sbrr_dirReg, .Lfunc_end0-fft_rtc_fwd_len1056_factors_2_2_2_2_11_6_wgs_176_tpt_176_halfLds_half_op_CI_CI_unitstride_sbrr_dirReg
                                        ; -- End function
	.section	.AMDGPU.csdata,"",@progbits
; Kernel info:
; codeLenInByte = 6808
; NumSgprs: 29
; NumVgprs: 62
; ScratchSize: 0
; MemoryBound: 0
; FloatMode: 240
; IeeeMode: 1
; LDSByteSize: 0 bytes/workgroup (compile time only)
; SGPRBlocks: 3
; VGPRBlocks: 7
; NumSGPRsForWavesPerEU: 29
; NumVGPRsForWavesPerEU: 62
; Occupancy: 15
; WaveLimiterHint : 1
; COMPUTE_PGM_RSRC2:SCRATCH_EN: 0
; COMPUTE_PGM_RSRC2:USER_SGPR: 6
; COMPUTE_PGM_RSRC2:TRAP_HANDLER: 0
; COMPUTE_PGM_RSRC2:TGID_X_EN: 1
; COMPUTE_PGM_RSRC2:TGID_Y_EN: 0
; COMPUTE_PGM_RSRC2:TGID_Z_EN: 0
; COMPUTE_PGM_RSRC2:TIDIG_COMP_CNT: 0
	.text
	.p2alignl 6, 3214868480
	.fill 48, 4, 3214868480
	.type	__hip_cuid_924774762d9b3a95,@object ; @__hip_cuid_924774762d9b3a95
	.section	.bss,"aw",@nobits
	.globl	__hip_cuid_924774762d9b3a95
__hip_cuid_924774762d9b3a95:
	.byte	0                               ; 0x0
	.size	__hip_cuid_924774762d9b3a95, 1

	.ident	"AMD clang version 19.0.0git (https://github.com/RadeonOpenCompute/llvm-project roc-6.4.0 25133 c7fe45cf4b819c5991fe208aaa96edf142730f1d)"
	.section	".note.GNU-stack","",@progbits
	.addrsig
	.addrsig_sym __hip_cuid_924774762d9b3a95
	.amdgpu_metadata
---
amdhsa.kernels:
  - .args:
      - .actual_access:  read_only
        .address_space:  global
        .offset:         0
        .size:           8
        .value_kind:     global_buffer
      - .offset:         8
        .size:           8
        .value_kind:     by_value
      - .actual_access:  read_only
        .address_space:  global
        .offset:         16
        .size:           8
        .value_kind:     global_buffer
      - .actual_access:  read_only
        .address_space:  global
        .offset:         24
        .size:           8
        .value_kind:     global_buffer
      - .actual_access:  read_only
        .address_space:  global
        .offset:         32
        .size:           8
        .value_kind:     global_buffer
      - .offset:         40
        .size:           8
        .value_kind:     by_value
      - .actual_access:  read_only
        .address_space:  global
        .offset:         48
        .size:           8
        .value_kind:     global_buffer
      - .actual_access:  read_only
        .address_space:  global
        .offset:         56
        .size:           8
        .value_kind:     global_buffer
      - .offset:         64
        .size:           4
        .value_kind:     by_value
      - .actual_access:  read_only
        .address_space:  global
        .offset:         72
        .size:           8
        .value_kind:     global_buffer
      - .actual_access:  read_only
        .address_space:  global
        .offset:         80
        .size:           8
        .value_kind:     global_buffer
      - .actual_access:  read_only
        .address_space:  global
        .offset:         88
        .size:           8
        .value_kind:     global_buffer
      - .actual_access:  write_only
        .address_space:  global
        .offset:         96
        .size:           8
        .value_kind:     global_buffer
    .group_segment_fixed_size: 0
    .kernarg_segment_align: 8
    .kernarg_segment_size: 104
    .language:       OpenCL C
    .language_version:
      - 2
      - 0
    .max_flat_workgroup_size: 176
    .name:           fft_rtc_fwd_len1056_factors_2_2_2_2_11_6_wgs_176_tpt_176_halfLds_half_op_CI_CI_unitstride_sbrr_dirReg
    .private_segment_fixed_size: 0
    .sgpr_count:     29
    .sgpr_spill_count: 0
    .symbol:         fft_rtc_fwd_len1056_factors_2_2_2_2_11_6_wgs_176_tpt_176_halfLds_half_op_CI_CI_unitstride_sbrr_dirReg.kd
    .uniform_work_group_size: 1
    .uses_dynamic_stack: false
    .vgpr_count:     62
    .vgpr_spill_count: 0
    .wavefront_size: 32
    .workgroup_processor_mode: 1
amdhsa.target:   amdgcn-amd-amdhsa--gfx1030
amdhsa.version:
  - 1
  - 2
...

	.end_amdgpu_metadata
